;; amdgpu-corpus repo=ROCm/rocFFT kind=compiled arch=gfx1201 opt=O3
	.text
	.amdgcn_target "amdgcn-amd-amdhsa--gfx1201"
	.amdhsa_code_object_version 6
	.protected	fft_rtc_back_len1080_factors_6_10_6_3_wgs_216_tpt_108_halfLds_half_ip_CI_unitstride_sbrr_R2C_dirReg ; -- Begin function fft_rtc_back_len1080_factors_6_10_6_3_wgs_216_tpt_108_halfLds_half_ip_CI_unitstride_sbrr_R2C_dirReg
	.globl	fft_rtc_back_len1080_factors_6_10_6_3_wgs_216_tpt_108_halfLds_half_ip_CI_unitstride_sbrr_R2C_dirReg
	.p2align	8
	.type	fft_rtc_back_len1080_factors_6_10_6_3_wgs_216_tpt_108_halfLds_half_ip_CI_unitstride_sbrr_R2C_dirReg,@function
fft_rtc_back_len1080_factors_6_10_6_3_wgs_216_tpt_108_halfLds_half_ip_CI_unitstride_sbrr_R2C_dirReg: ; @fft_rtc_back_len1080_factors_6_10_6_3_wgs_216_tpt_108_halfLds_half_ip_CI_unitstride_sbrr_R2C_dirReg
; %bb.0:
	s_clause 0x2
	s_load_b128 s[4:7], s[0:1], 0x0
	s_load_b64 s[8:9], s[0:1], 0x50
	s_load_b64 s[10:11], s[0:1], 0x18
	v_mul_u32_u24_e32 v1, 0x25f, v0
	v_mov_b32_e32 v3, 0
	s_delay_alu instid0(VALU_DEP_2) | instskip(SKIP_2) | instid1(VALU_DEP_4)
	v_lshrrev_b32_e32 v9, 16, v1
	v_mov_b32_e32 v1, 0
	v_mov_b32_e32 v2, 0
	;; [unrolled: 1-line block ×3, first 2 shown]
	s_delay_alu instid0(VALU_DEP_4) | instskip(SKIP_2) | instid1(VALU_DEP_1)
	v_lshl_add_u32 v5, ttmp9, 1, v9
	s_wait_kmcnt 0x0
	v_cmp_lt_u64_e64 s2, s[6:7], 2
	s_and_b32 vcc_lo, exec_lo, s2
	s_cbranch_vccnz .LBB0_8
; %bb.1:
	s_load_b64 s[2:3], s[0:1], 0x10
	v_mov_b32_e32 v1, 0
	v_mov_b32_e32 v2, 0
	s_add_nc_u64 s[12:13], s[10:11], 8
	s_mov_b64 s[14:15], 1
	s_wait_kmcnt 0x0
	s_add_nc_u64 s[16:17], s[2:3], 8
	s_mov_b32 s3, 0
.LBB0_2:                                ; =>This Inner Loop Header: Depth=1
	s_load_b64 s[18:19], s[16:17], 0x0
                                        ; implicit-def: $vgpr7_vgpr8
	s_mov_b32 s2, exec_lo
	s_wait_kmcnt 0x0
	v_or_b32_e32 v4, s19, v6
	s_delay_alu instid0(VALU_DEP_1)
	v_cmpx_ne_u64_e32 0, v[3:4]
	s_wait_alu 0xfffe
	s_xor_b32 s20, exec_lo, s2
	s_cbranch_execz .LBB0_4
; %bb.3:                                ;   in Loop: Header=BB0_2 Depth=1
	s_cvt_f32_u32 s2, s18
	s_cvt_f32_u32 s21, s19
	s_sub_nc_u64 s[24:25], 0, s[18:19]
	s_wait_alu 0xfffe
	s_delay_alu instid0(SALU_CYCLE_1) | instskip(SKIP_1) | instid1(SALU_CYCLE_2)
	s_fmamk_f32 s2, s21, 0x4f800000, s2
	s_wait_alu 0xfffe
	v_s_rcp_f32 s2, s2
	s_delay_alu instid0(TRANS32_DEP_1) | instskip(SKIP_1) | instid1(SALU_CYCLE_2)
	s_mul_f32 s2, s2, 0x5f7ffffc
	s_wait_alu 0xfffe
	s_mul_f32 s21, s2, 0x2f800000
	s_wait_alu 0xfffe
	s_delay_alu instid0(SALU_CYCLE_2) | instskip(SKIP_1) | instid1(SALU_CYCLE_2)
	s_trunc_f32 s21, s21
	s_wait_alu 0xfffe
	s_fmamk_f32 s2, s21, 0xcf800000, s2
	s_cvt_u32_f32 s23, s21
	s_wait_alu 0xfffe
	s_delay_alu instid0(SALU_CYCLE_1) | instskip(SKIP_1) | instid1(SALU_CYCLE_2)
	s_cvt_u32_f32 s22, s2
	s_wait_alu 0xfffe
	s_mul_u64 s[26:27], s[24:25], s[22:23]
	s_wait_alu 0xfffe
	s_mul_hi_u32 s29, s22, s27
	s_mul_i32 s28, s22, s27
	s_mul_hi_u32 s2, s22, s26
	s_mul_i32 s30, s23, s26
	s_wait_alu 0xfffe
	s_add_nc_u64 s[28:29], s[2:3], s[28:29]
	s_mul_hi_u32 s21, s23, s26
	s_mul_hi_u32 s31, s23, s27
	s_add_co_u32 s2, s28, s30
	s_wait_alu 0xfffe
	s_add_co_ci_u32 s2, s29, s21
	s_mul_i32 s26, s23, s27
	s_add_co_ci_u32 s27, s31, 0
	s_wait_alu 0xfffe
	s_add_nc_u64 s[26:27], s[2:3], s[26:27]
	s_wait_alu 0xfffe
	v_add_co_u32 v4, s2, s22, s26
	s_delay_alu instid0(VALU_DEP_1) | instskip(SKIP_1) | instid1(VALU_DEP_1)
	s_cmp_lg_u32 s2, 0
	s_add_co_ci_u32 s23, s23, s27
	v_readfirstlane_b32 s22, v4
	s_wait_alu 0xfffe
	s_delay_alu instid0(VALU_DEP_1)
	s_mul_u64 s[24:25], s[24:25], s[22:23]
	s_wait_alu 0xfffe
	s_mul_hi_u32 s27, s22, s25
	s_mul_i32 s26, s22, s25
	s_mul_hi_u32 s2, s22, s24
	s_mul_i32 s28, s23, s24
	s_wait_alu 0xfffe
	s_add_nc_u64 s[26:27], s[2:3], s[26:27]
	s_mul_hi_u32 s21, s23, s24
	s_mul_hi_u32 s22, s23, s25
	s_wait_alu 0xfffe
	s_add_co_u32 s2, s26, s28
	s_add_co_ci_u32 s2, s27, s21
	s_mul_i32 s24, s23, s25
	s_add_co_ci_u32 s25, s22, 0
	s_wait_alu 0xfffe
	s_add_nc_u64 s[24:25], s[2:3], s[24:25]
	s_wait_alu 0xfffe
	v_add_co_u32 v4, s2, v4, s24
	s_delay_alu instid0(VALU_DEP_1) | instskip(SKIP_1) | instid1(VALU_DEP_1)
	s_cmp_lg_u32 s2, 0
	s_add_co_ci_u32 s2, s23, s25
	v_mul_hi_u32 v14, v5, v4
	s_wait_alu 0xfffe
	v_mad_co_u64_u32 v[7:8], null, v5, s2, 0
	v_mad_co_u64_u32 v[10:11], null, v6, v4, 0
	;; [unrolled: 1-line block ×3, first 2 shown]
	s_delay_alu instid0(VALU_DEP_3) | instskip(SKIP_1) | instid1(VALU_DEP_4)
	v_add_co_u32 v4, vcc_lo, v14, v7
	s_wait_alu 0xfffd
	v_add_co_ci_u32_e32 v7, vcc_lo, 0, v8, vcc_lo
	s_delay_alu instid0(VALU_DEP_2) | instskip(SKIP_1) | instid1(VALU_DEP_2)
	v_add_co_u32 v4, vcc_lo, v4, v10
	s_wait_alu 0xfffd
	v_add_co_ci_u32_e32 v4, vcc_lo, v7, v11, vcc_lo
	s_wait_alu 0xfffd
	v_add_co_ci_u32_e32 v7, vcc_lo, 0, v13, vcc_lo
	s_delay_alu instid0(VALU_DEP_2) | instskip(SKIP_1) | instid1(VALU_DEP_2)
	v_add_co_u32 v4, vcc_lo, v4, v12
	s_wait_alu 0xfffd
	v_add_co_ci_u32_e32 v10, vcc_lo, 0, v7, vcc_lo
	s_delay_alu instid0(VALU_DEP_2) | instskip(SKIP_1) | instid1(VALU_DEP_3)
	v_mul_lo_u32 v11, s19, v4
	v_mad_co_u64_u32 v[7:8], null, s18, v4, 0
	v_mul_lo_u32 v12, s18, v10
	s_delay_alu instid0(VALU_DEP_2) | instskip(NEXT) | instid1(VALU_DEP_2)
	v_sub_co_u32 v7, vcc_lo, v5, v7
	v_add3_u32 v8, v8, v12, v11
	s_delay_alu instid0(VALU_DEP_1) | instskip(SKIP_1) | instid1(VALU_DEP_1)
	v_sub_nc_u32_e32 v11, v6, v8
	s_wait_alu 0xfffd
	v_subrev_co_ci_u32_e64 v11, s2, s19, v11, vcc_lo
	v_add_co_u32 v12, s2, v4, 2
	s_wait_alu 0xf1ff
	v_add_co_ci_u32_e64 v13, s2, 0, v10, s2
	v_sub_co_u32 v14, s2, v7, s18
	v_sub_co_ci_u32_e32 v8, vcc_lo, v6, v8, vcc_lo
	s_wait_alu 0xf1ff
	v_subrev_co_ci_u32_e64 v11, s2, 0, v11, s2
	s_delay_alu instid0(VALU_DEP_3) | instskip(NEXT) | instid1(VALU_DEP_3)
	v_cmp_le_u32_e32 vcc_lo, s18, v14
	v_cmp_eq_u32_e64 s2, s19, v8
	s_wait_alu 0xfffd
	v_cndmask_b32_e64 v14, 0, -1, vcc_lo
	v_cmp_le_u32_e32 vcc_lo, s19, v11
	s_wait_alu 0xfffd
	v_cndmask_b32_e64 v15, 0, -1, vcc_lo
	v_cmp_le_u32_e32 vcc_lo, s18, v7
	;; [unrolled: 3-line block ×3, first 2 shown]
	s_wait_alu 0xfffd
	v_cndmask_b32_e64 v16, 0, -1, vcc_lo
	v_cmp_eq_u32_e32 vcc_lo, s19, v11
	s_wait_alu 0xf1ff
	s_delay_alu instid0(VALU_DEP_2)
	v_cndmask_b32_e64 v7, v16, v7, s2
	s_wait_alu 0xfffd
	v_cndmask_b32_e32 v11, v15, v14, vcc_lo
	v_add_co_u32 v14, vcc_lo, v4, 1
	s_wait_alu 0xfffd
	v_add_co_ci_u32_e32 v15, vcc_lo, 0, v10, vcc_lo
	s_delay_alu instid0(VALU_DEP_3) | instskip(SKIP_1) | instid1(VALU_DEP_2)
	v_cmp_ne_u32_e32 vcc_lo, 0, v11
	s_wait_alu 0xfffd
	v_dual_cndmask_b32 v8, v15, v13 :: v_dual_cndmask_b32 v11, v14, v12
	v_cmp_ne_u32_e32 vcc_lo, 0, v7
	s_wait_alu 0xfffd
	s_delay_alu instid0(VALU_DEP_2)
	v_dual_cndmask_b32 v8, v10, v8 :: v_dual_cndmask_b32 v7, v4, v11
.LBB0_4:                                ;   in Loop: Header=BB0_2 Depth=1
	s_wait_alu 0xfffe
	s_and_not1_saveexec_b32 s2, s20
	s_cbranch_execz .LBB0_6
; %bb.5:                                ;   in Loop: Header=BB0_2 Depth=1
	v_cvt_f32_u32_e32 v4, s18
	s_sub_co_i32 s20, 0, s18
	s_delay_alu instid0(VALU_DEP_1) | instskip(NEXT) | instid1(TRANS32_DEP_1)
	v_rcp_iflag_f32_e32 v4, v4
	v_mul_f32_e32 v4, 0x4f7ffffe, v4
	s_delay_alu instid0(VALU_DEP_1) | instskip(SKIP_1) | instid1(VALU_DEP_1)
	v_cvt_u32_f32_e32 v4, v4
	s_wait_alu 0xfffe
	v_mul_lo_u32 v7, s20, v4
	s_delay_alu instid0(VALU_DEP_1) | instskip(NEXT) | instid1(VALU_DEP_1)
	v_mul_hi_u32 v7, v4, v7
	v_add_nc_u32_e32 v4, v4, v7
	s_delay_alu instid0(VALU_DEP_1) | instskip(NEXT) | instid1(VALU_DEP_1)
	v_mul_hi_u32 v4, v5, v4
	v_mul_lo_u32 v7, v4, s18
	v_add_nc_u32_e32 v8, 1, v4
	s_delay_alu instid0(VALU_DEP_2) | instskip(NEXT) | instid1(VALU_DEP_1)
	v_sub_nc_u32_e32 v7, v5, v7
	v_subrev_nc_u32_e32 v10, s18, v7
	v_cmp_le_u32_e32 vcc_lo, s18, v7
	s_wait_alu 0xfffd
	s_delay_alu instid0(VALU_DEP_2) | instskip(NEXT) | instid1(VALU_DEP_1)
	v_dual_cndmask_b32 v7, v7, v10 :: v_dual_cndmask_b32 v4, v4, v8
	v_cmp_le_u32_e32 vcc_lo, s18, v7
	s_delay_alu instid0(VALU_DEP_2) | instskip(SKIP_1) | instid1(VALU_DEP_1)
	v_add_nc_u32_e32 v8, 1, v4
	s_wait_alu 0xfffd
	v_dual_cndmask_b32 v7, v4, v8 :: v_dual_mov_b32 v8, v3
.LBB0_6:                                ;   in Loop: Header=BB0_2 Depth=1
	s_wait_alu 0xfffe
	s_or_b32 exec_lo, exec_lo, s2
	s_load_b64 s[20:21], s[12:13], 0x0
	s_delay_alu instid0(VALU_DEP_1)
	v_mul_lo_u32 v4, v8, s18
	v_mul_lo_u32 v12, v7, s19
	v_mad_co_u64_u32 v[10:11], null, v7, s18, 0
	s_add_nc_u64 s[14:15], s[14:15], 1
	s_add_nc_u64 s[12:13], s[12:13], 8
	s_wait_alu 0xfffe
	v_cmp_ge_u64_e64 s2, s[14:15], s[6:7]
	s_add_nc_u64 s[16:17], s[16:17], 8
	s_delay_alu instid0(VALU_DEP_2) | instskip(NEXT) | instid1(VALU_DEP_3)
	v_add3_u32 v4, v11, v12, v4
	v_sub_co_u32 v5, vcc_lo, v5, v10
	s_wait_alu 0xfffd
	s_delay_alu instid0(VALU_DEP_2) | instskip(SKIP_3) | instid1(VALU_DEP_2)
	v_sub_co_ci_u32_e32 v4, vcc_lo, v6, v4, vcc_lo
	s_and_b32 vcc_lo, exec_lo, s2
	s_wait_kmcnt 0x0
	v_mul_lo_u32 v6, s21, v5
	v_mul_lo_u32 v4, s20, v4
	v_mad_co_u64_u32 v[1:2], null, s20, v5, v[1:2]
	s_delay_alu instid0(VALU_DEP_1)
	v_add3_u32 v2, v6, v2, v4
	s_wait_alu 0xfffe
	s_cbranch_vccnz .LBB0_9
; %bb.7:                                ;   in Loop: Header=BB0_2 Depth=1
	v_dual_mov_b32 v5, v7 :: v_dual_mov_b32 v6, v8
	s_branch .LBB0_2
.LBB0_8:
	v_dual_mov_b32 v8, v6 :: v_dual_mov_b32 v7, v5
.LBB0_9:
	s_lshl_b64 s[2:3], s[6:7], 3
	v_mul_hi_u32 v3, 0x25ed098, v0
	s_wait_alu 0xfffe
	s_add_nc_u64 s[2:3], s[10:11], s[2:3]
	v_and_b32_e32 v6, 1, v9
	s_load_b64 s[2:3], s[2:3], 0x0
	s_load_b64 s[6:7], s[0:1], 0x20
	s_delay_alu instid0(VALU_DEP_1) | instskip(NEXT) | instid1(VALU_DEP_3)
	v_cmp_eq_u32_e64 s0, 1, v6
	v_mul_u32_u24_e32 v3, 0x6c, v3
	s_delay_alu instid0(VALU_DEP_1)
	v_sub_nc_u32_e32 v0, v0, v3
	s_wait_kmcnt 0x0
	v_mul_lo_u32 v4, s2, v8
	v_mul_lo_u32 v5, s3, v7
	v_mad_co_u64_u32 v[1:2], null, s2, v7, v[1:2]
	v_cmp_gt_u64_e32 vcc_lo, s[6:7], v[7:8]
	v_cmp_le_u64_e64 s1, s[6:7], v[7:8]
	s_delay_alu instid0(VALU_DEP_3) | instskip(SKIP_1) | instid1(VALU_DEP_3)
	v_add3_u32 v2, v5, v2, v4
	v_add_nc_u32_e32 v4, 0x6c, v0
	s_and_saveexec_b32 s2, s1
	s_wait_alu 0xfffe
	s_xor_b32 s1, exec_lo, s2
; %bb.10:
	v_add_nc_u32_e32 v4, 0x6c, v0
; %bb.11:
	s_wait_alu 0xfffe
	s_or_saveexec_b32 s1, s1
	v_cndmask_b32_e64 v5, 0, 0x439, s0
	v_lshlrev_b64_e32 v[2:3], 2, v[1:2]
	v_lshlrev_b32_e32 v17, 2, v0
	s_delay_alu instid0(VALU_DEP_3)
	v_lshlrev_b32_e32 v18, 2, v5
	s_wait_alu 0xfffe
	s_xor_b32 exec_lo, exec_lo, s1
	s_cbranch_execz .LBB0_13
; %bb.12:
	v_mov_b32_e32 v1, 0
	s_delay_alu instid0(VALU_DEP_1) | instskip(SKIP_3) | instid1(VALU_DEP_2)
	v_lshlrev_b64_e32 v[5:6], 2, v[0:1]
	v_add_co_u32 v1, s0, s8, v2
	s_wait_alu 0xf1ff
	v_add_co_ci_u32_e64 v7, s0, s9, v3, s0
	v_add_co_u32 v5, s0, v1, v5
	s_wait_alu 0xf1ff
	s_delay_alu instid0(VALU_DEP_2)
	v_add_co_ci_u32_e64 v6, s0, v7, v6, s0
	s_clause 0x9
	global_load_b32 v1, v[5:6], off
	global_load_b32 v7, v[5:6], off offset:432
	global_load_b32 v8, v[5:6], off offset:864
	;; [unrolled: 1-line block ×9, first 2 shown]
	v_add3_u32 v6, 0, v18, v17
	s_delay_alu instid0(VALU_DEP_1)
	v_add_nc_u32_e32 v16, 0x600, v6
	v_add_nc_u32_e32 v15, 0x200, v6
	;; [unrolled: 1-line block ×4, first 2 shown]
	s_wait_loadcnt 0x8
	ds_store_2addr_b32 v6, v1, v7 offset1:108
	s_wait_loadcnt 0x6
	ds_store_2addr_b32 v15, v8, v9 offset0:88 offset1:196
	s_wait_loadcnt 0x4
	ds_store_2addr_b32 v16, v10, v11 offset0:48 offset1:156
	;; [unrolled: 2-line block ×4, first 2 shown]
.LBB0_13:
	s_or_b32 exec_lo, exec_lo, s1
	v_add_nc_u32_e32 v19, 0, v17
	v_add_nc_u32_e32 v16, 0, v18
	global_wb scope:SCOPE_SE
	s_wait_dscnt 0x0
	s_barrier_signal -1
	s_barrier_wait -1
	v_add_nc_u32_e32 v1, v19, v18
	v_add_nc_u32_e32 v15, v16, v17
	global_inv scope:SCOPE_SE
	v_mad_u32_u24 v19, v0, 20, v19
	v_cmp_gt_u32_e64 s0, 0x48, v0
	v_add_nc_u32_e32 v23, 0x600, v1
	v_add_nc_u32_e32 v24, 0xc00, v1
	;; [unrolled: 1-line block ×5, first 2 shown]
	ds_load_2addr_b32 v[7:8], v23 offset0:84 offset1:156
	ds_load_2addr_b32 v[5:6], v24 offset0:60 offset1:132
	;; [unrolled: 1-line block ×3, first 2 shown]
	ds_load_b32 v25, v1 offset:4032
	ds_load_b32 v20, v15
	ds_load_2addr_b32 v[11:12], v11 offset0:32 offset1:104
	ds_load_2addr_b32 v[13:14], v1 offset0:108 offset1:180
	global_wb scope:SCOPE_SE
	s_wait_dscnt 0x0
	s_barrier_signal -1
	s_barrier_wait -1
	global_inv scope:SCOPE_SE
	v_pk_add_f16 v21, v7, v5
	v_pk_add_f16 v33, v8, v6
	;; [unrolled: 1-line block ×3, first 2 shown]
	v_pk_add_f16 v28, v9, v25 neg_lo:[0,1] neg_hi:[0,1]
	v_pk_add_f16 v32, v12, v10
	v_pk_add_f16 v31, v14, v8
	;; [unrolled: 1-line block ×3, first 2 shown]
	v_pk_add_f16 v12, v12, v10 neg_lo:[0,1] neg_hi:[0,1]
	v_pk_add_f16 v34, v8, v6 neg_lo:[0,1] neg_hi:[0,1]
	v_pk_fma_f16 v8, v21, 0.5, v13 op_sel_hi:[1,0,1] neg_lo:[1,0,0] neg_hi:[1,0,0]
	v_pk_fma_f16 v21, v27, 0.5, v11 op_sel_hi:[1,0,1] neg_lo:[1,0,0] neg_hi:[1,0,0]
	v_pk_add_f16 v31, v31, v6
	v_pk_fma_f16 v6, v32, 0.5, v20 op_sel_hi:[1,0,1] neg_lo:[1,0,0] neg_hi:[1,0,0]
	v_pk_fma_f16 v14, v33, 0.5, v14 op_sel_hi:[1,0,1] neg_lo:[1,0,0] neg_hi:[1,0,0]
	v_pk_add_f16 v26, v7, v5 neg_lo:[0,1] neg_hi:[0,1]
	v_pk_fma_f16 v20, 0x3aee, v28, v21 op_sel:[0,0,1] op_sel_hi:[0,1,0]
	v_pk_fma_f16 v21, 0x3aee, v28, v21 op_sel:[0,0,1] op_sel_hi:[0,1,0] neg_lo:[0,1,0] neg_hi:[0,1,0]
	v_pk_fma_f16 v33, 0x3aee, v12, v6 op_sel:[0,0,1] op_sel_hi:[0,1,0] neg_lo:[0,1,0] neg_hi:[0,1,0]
	v_pk_fma_f16 v35, 0x3aee, v12, v6 op_sel:[0,0,1] op_sel_hi:[0,1,0]
	v_pk_fma_f16 v6, 0x3aee, v34, v14 op_sel:[0,0,1] op_sel_hi:[0,1,0]
	v_pk_fma_f16 v14, 0x3aee, v34, v14 op_sel:[0,0,1] op_sel_hi:[0,1,0] neg_lo:[0,1,0] neg_hi:[0,1,0]
	v_pk_add_f16 v30, v30, v10
	v_pk_fma_f16 v10, 0x3aee, v26, v8 op_sel:[0,0,1] op_sel_hi:[0,1,0] neg_lo:[0,1,0] neg_hi:[0,1,0]
	v_pk_fma_f16 v8, 0x3aee, v26, v8 op_sel:[0,0,1] op_sel_hi:[0,1,0]
	v_lshrrev_b32_e32 v28, 16, v21
	v_pk_mul_f16 v27, 0x3aee, v21 op_sel_hi:[0,1]
	v_mul_f16_e32 v34, 0x3aee, v20
	v_lshrrev_b32_e32 v36, 16, v20
	v_mul_f16_e32 v26, -0.5, v21
	v_pk_mul_f16 v40, 0x3aee, v14 op_sel_hi:[0,1]
	v_pk_fma_f16 v21, 0xb8003800, v20, v27 op_sel:[0,0,1] op_sel_hi:[1,1,0]
	v_pk_fma_f16 v20, 0xb8003800, v20, v27 op_sel:[0,0,1] op_sel_hi:[1,1,0] neg_lo:[0,0,1] neg_hi:[0,0,1]
	v_lshrrev_b32_e32 v38, 16, v14
	v_mul_f16_e32 v39, 0x3aee, v6
	v_lshrrev_b32_e32 v41, 16, v6
	v_mul_f16_e32 v42, -0.5, v14
	v_fma_f16 v28, v28, 0.5, -v34
	v_fmac_f16_e32 v26, 0x3aee, v36
	v_pk_fma_f16 v34, 0xb8003800, v6, v40 op_sel:[0,0,1] op_sel_hi:[1,1,0]
	v_pk_fma_f16 v36, 0xb8003800, v6, v40 op_sel:[0,0,1] op_sel_hi:[1,1,0] neg_lo:[0,0,1] neg_hi:[0,0,1]
	v_lshrrev_b32_e32 v37, 16, v33
	v_bfi_b32 v27, 0xffff, v21, v20
	v_fma_f16 v38, v38, 0.5, -v39
	v_fmac_f16_e32 v42, 0x3aee, v41
	v_bfi_b32 v39, 0xffff, v34, v36
	v_lshrrev_b32_e32 v12, 16, v10
	v_pk_add_f16 v21, v8, v27 neg_lo:[0,1] neg_hi:[0,1]
	v_add_f16_e32 v37, v37, v38
	v_add_f16_e32 v40, v33, v42
	v_pk_add_f16 v39, v35, v39
	v_alignbit_b32 v41, v35, v33, 16
	v_pack_b32_f16 v34, v38, v34
	v_alignbit_b32 v33, v33, v35, 16
	v_alignbit_b32 v35, v42, v36, 16
	v_sub_f16_e32 v6, v12, v28
	v_sub_f16_e32 v20, v10, v26
	v_lshrrev_b32_e32 v14, 16, v21
	v_alignbit_b32 v36, v40, v39, 16
	v_pack_b32_f16 v37, v37, v39
	v_pk_add_f16 v32, v30, v31
	v_pk_add_f16 v30, v30, v31 neg_lo:[0,1] neg_hi:[0,1]
	v_pk_add_f16 v31, v41, v34 neg_lo:[0,1] neg_hi:[0,1]
	;; [unrolled: 1-line block ×3, first 2 shown]
	ds_store_2addr_b32 v29, v37, v36 offset0:1 offset1:2
	ds_store_2addr_b32 v29, v30, v31 offset0:3 offset1:4
	ds_store_2addr_b32 v29, v32, v33 offset1:5
	s_and_saveexec_b32 s1, s0
	s_cbranch_execz .LBB0_15
; %bb.14:
	v_mul_i32_i24_e32 v29, 6, v4
	v_pk_add_f16 v7, v13, v7
	v_pk_add_f16 v9, v11, v9
	v_add_f16_e32 v10, v10, v26
	v_pk_add_f16 v8, v8, v27
	v_lshlrev_b32_e32 v11, 2, v29
	v_pk_add_f16 v5, v7, v5
	v_pk_add_f16 v7, v9, v25
	v_add_f16_e32 v9, v12, v28
	v_alignbit_b32 v10, v10, v8, 16
	v_add3_u32 v11, 0, v11, v18
	s_delay_alu instid0(VALU_DEP_4) | instskip(NEXT) | instid1(VALU_DEP_4)
	v_pk_add_f16 v12, v5, v7
	v_pack_b32_f16 v8, v9, v8
	v_pk_add_f16 v5, v5, v7 neg_lo:[0,1] neg_hi:[0,1]
	v_perm_b32 v7, v21, v6, 0x5040100
	v_perm_b32 v9, v20, v14, 0x5040100
	ds_store_2addr_b32 v11, v8, v10 offset0:1 offset1:2
	ds_store_2addr_b32 v11, v5, v7 offset0:3 offset1:4
	ds_store_2addr_b32 v11, v12, v9 offset1:5
.LBB0_15:
	s_wait_alu 0xfffe
	s_or_b32 exec_lo, exec_lo, s1
	v_and_b32_e32 v5, 0xff, v0
	global_wb scope:SCOPE_SE
	s_wait_dscnt 0x0
	s_barrier_signal -1
	s_barrier_wait -1
	global_inv scope:SCOPE_SE
	v_mul_lo_u16 v5, 0xab, v5
	v_lshlrev_b32_e32 v13, 2, v4
	v_add_nc_u32_e32 v36, 0x200, v1
	s_delay_alu instid0(VALU_DEP_3) | instskip(NEXT) | instid1(VALU_DEP_3)
	v_lshrrev_b16 v5, 10, v5
	v_add3_u32 v13, 0, v13, v18
	s_delay_alu instid0(VALU_DEP_2) | instskip(SKIP_1) | instid1(VALU_DEP_2)
	v_mul_lo_u16 v7, v5, 6
	v_and_b32_e32 v5, 0xffff, v5
	v_sub_nc_u16 v7, v0, v7
	s_delay_alu instid0(VALU_DEP_2) | instskip(NEXT) | instid1(VALU_DEP_2)
	v_mad_u32_u24 v5, 0xf0, v5, 0
	v_and_b32_e32 v33, 0xff, v7
	s_delay_alu instid0(VALU_DEP_1) | instskip(SKIP_1) | instid1(VALU_DEP_2)
	v_mul_u32_u24_e32 v7, 9, v33
	v_lshlrev_b32_e32 v33, 2, v33
	v_lshlrev_b32_e32 v11, 2, v7
	s_delay_alu instid0(VALU_DEP_2)
	v_add3_u32 v33, v5, v33, v18
	s_clause 0x2
	global_load_b128 v[7:10], v11, s[4:5]
	global_load_b128 v[25:28], v11, s[4:5] offset:16
	global_load_b32 v34, v11, s[4:5] offset:32
	ds_load_b32 v35, v15
	ds_load_2addr_b32 v[11:12], v22 offset0:136 offset1:244
	ds_load_2addr_b32 v[29:30], v24 offset0:96 offset1:204
	;; [unrolled: 1-line block ×4, first 2 shown]
	ds_load_b32 v37, v13
	global_wb scope:SCOPE_SE
	s_wait_loadcnt_dscnt 0x0
	s_barrier_signal -1
	s_barrier_wait -1
	global_inv scope:SCOPE_SE
	v_lshrrev_b32_e32 v38, 16, v35
	v_lshrrev_b32_e32 v39, 16, v11
	;; [unrolled: 1-line block ×19, first 2 shown]
	v_mul_f16_e32 v56, v5, v47
	v_mul_f16_e32 v5, v5, v37
	;; [unrolled: 1-line block ×18, first 2 shown]
	v_fmac_f16_e32 v56, v7, v37
	v_fma_f16 v5, v7, v47, -v5
	v_fmac_f16_e32 v57, v8, v31
	v_fma_f16 v7, v8, v45, -v48
	;; [unrolled: 2-line block ×4, first 2 shown]
	v_fma_f16 v10, v25, v44, -v51
	v_fmac_f16_e32 v61, v11, v26
	v_fma_f16 v11, v39, v26, -v52
	v_fmac_f16_e32 v62, v12, v27
	;; [unrolled: 2-line block ×5, first 2 shown]
	v_add_f16_e32 v25, v35, v57
	v_sub_f16_e32 v29, v57, v59
	v_sub_f16_e32 v30, v63, v61
	v_add_f16_e32 v31, v57, v63
	v_sub_f16_e32 v32, v59, v57
	v_sub_f16_e32 v34, v61, v63
	v_sub_f16_e32 v40, v57, v63
	v_sub_f16_e32 v42, v7, v9
	v_sub_f16_e32 v43, v23, v11
	v_add_f16_e32 v55, v5, v8
	v_add_f16_e32 v57, v10, v12
	v_add_f16_e32 v68, v8, v24
	v_add_f16_e32 v37, v38, v7
	v_add_f16_e32 v46, v56, v58
	v_add_f16_e32 v47, v60, v62
	v_sub_f16_e32 v48, v8, v24
	v_sub_f16_e32 v49, v10, v12
	;; [unrolled: 1-line block ×3, first 2 shown]
	v_add_f16_e32 v52, v58, v64
	v_sub_f16_e32 v53, v60, v58
	v_sub_f16_e32 v58, v58, v64
	;; [unrolled: 1-line block ×4, first 2 shown]
	v_add_f16_e32 v29, v29, v30
	v_add_f16_e32 v30, v32, v34
	;; [unrolled: 1-line block ×4, first 2 shown]
	v_fma_f16 v43, -0.5, v57, v5
	v_add_f16_e32 v26, v59, v61
	v_add_f16_e32 v39, v9, v11
	;; [unrolled: 1-line block ×3, first 2 shown]
	v_sub_f16_e32 v65, v60, v62
	v_fmac_f16_e32 v5, -0.5, v68
	v_sub_f16_e32 v27, v7, v23
	v_sub_f16_e32 v28, v9, v11
	;; [unrolled: 1-line block ×6, first 2 shown]
	v_add_f16_e32 v9, v37, v9
	v_fma_f16 v37, -0.5, v47, v56
	v_add_f16_e32 v10, v10, v12
	v_fmamk_f16 v12, v58, 0x3b9c, v43
	v_sub_f16_e32 v41, v59, v61
	v_sub_f16_e32 v45, v11, v23
	v_add_f16_e32 v25, v25, v59
	v_fma_f16 v26, -0.5, v26, v35
	v_fmac_f16_e32 v35, -0.5, v31
	v_fma_f16 v31, -0.5, v39, v38
	v_fmac_f16_e32 v38, -0.5, v44
	v_add_f16_e32 v34, v46, v60
	v_fmac_f16_e32 v56, -0.5, v52
	v_fmamk_f16 v52, v65, 0xbb9c, v5
	v_fmac_f16_e32 v5, 0x3b9c, v65
	v_fmac_f16_e32 v43, 0xbb9c, v58
	v_add_f16_e32 v39, v50, v51
	v_add_f16_e32 v44, v66, v67
	;; [unrolled: 1-line block ×3, first 2 shown]
	v_fmamk_f16 v50, v48, 0xbb9c, v37
	v_fmac_f16_e32 v12, 0x38b4, v65
	v_sub_f16_e32 v54, v62, v64
	v_add_f16_e32 v7, v7, v45
	v_add_f16_e32 v8, v8, v69
	;; [unrolled: 1-line block ×3, first 2 shown]
	v_fmamk_f16 v45, v27, 0xbb9c, v26
	v_fmac_f16_e32 v26, 0x3b9c, v27
	v_fmamk_f16 v47, v41, 0xbb9c, v38
	v_fmac_f16_e32 v38, 0x3b9c, v41
	v_add_f16_e32 v34, v34, v62
	v_fmamk_f16 v51, v49, 0x3b9c, v56
	v_fmac_f16_e32 v56, 0xbb9c, v49
	v_fmac_f16_e32 v52, 0x38b4, v58
	;; [unrolled: 1-line block ×3, first 2 shown]
	v_fmamk_f16 v46, v28, 0x3b9c, v35
	v_fmac_f16_e32 v35, 0xbb9c, v28
	v_fmac_f16_e32 v37, 0x3b9c, v48
	;; [unrolled: 1-line block ×3, first 2 shown]
	v_fmamk_f16 v11, v40, 0x3b9c, v31
	v_add_f16_e32 v9, v9, v23
	v_fmac_f16_e32 v50, 0xb8b4, v49
	v_add_f16_e32 v10, v10, v24
	v_fmac_f16_e32 v12, 0x34f2, v44
	v_add_f16_e32 v42, v53, v54
	v_add_f16_e32 v25, v25, v63
	v_fmac_f16_e32 v45, 0xb8b4, v28
	v_fmac_f16_e32 v26, 0x38b4, v28
	;; [unrolled: 1-line block ×4, first 2 shown]
	v_add_f16_e32 v23, v34, v64
	v_fmac_f16_e32 v51, 0xb8b4, v48
	v_fmac_f16_e32 v56, 0x38b4, v48
	;; [unrolled: 1-line block ×11, first 2 shown]
	v_add_f16_e32 v8, v9, v10
	v_sub_f16_e32 v9, v9, v10
	v_mul_f16_e32 v10, 0xb8b4, v12
	v_mul_f16_e32 v12, 0x3a79, v12
	v_fmac_f16_e32 v45, 0x34f2, v29
	v_fmac_f16_e32 v26, 0x34f2, v29
	;; [unrolled: 1-line block ×6, first 2 shown]
	v_add_f16_e32 v7, v25, v23
	v_sub_f16_e32 v23, v25, v23
	v_mul_f16_e32 v24, 0xbb9c, v52
	v_mul_f16_e32 v25, 0xbb9c, v5
	;; [unrolled: 1-line block ×4, first 2 shown]
	v_fmac_f16_e32 v31, 0xb8b4, v41
	v_fmac_f16_e32 v46, 0x34f2, v30
	;; [unrolled: 1-line block ×4, first 2 shown]
	v_mul_f16_e32 v27, 0xb8b4, v43
	v_mul_f16_e32 v30, 0xba79, v43
	v_fmac_f16_e32 v11, 0x34f2, v32
	v_fmac_f16_e32 v10, 0x3a79, v50
	;; [unrolled: 1-line block ×10, first 2 shown]
	v_add_f16_e32 v34, v45, v10
	v_add_f16_e32 v41, v11, v12
	;; [unrolled: 1-line block ×8, first 2 shown]
	v_pack_b32_f16 v32, v7, v8
	v_pack_b32_f16 v9, v23, v9
	v_sub_f16_e32 v23, v45, v10
	v_sub_f16_e32 v7, v46, v24
	;; [unrolled: 1-line block ×8, first 2 shown]
	v_pack_b32_f16 v10, v34, v41
	v_pack_b32_f16 v11, v37, v42
	;; [unrolled: 1-line block ×8, first 2 shown]
	ds_store_2addr_b32 v33, v32, v10 offset1:6
	ds_store_2addr_b32 v33, v11, v12 offset0:12 offset1:18
	ds_store_2addr_b32 v33, v28, v9 offset0:24 offset1:30
	;; [unrolled: 1-line block ×4, first 2 shown]
	global_wb scope:SCOPE_SE
	s_wait_dscnt 0x0
	s_barrier_signal -1
	s_barrier_wait -1
	global_inv scope:SCOPE_SE
	ds_load_2addr_b32 v[11:12], v36 offset0:52 offset1:232
	ds_load_2addr_b32 v[9:10], v22 offset0:28 offset1:208
	ds_load_b32 v22, v15
	ds_load_b32 v30, v1 offset:3600
	s_and_saveexec_b32 s1, s0
	s_cbranch_execz .LBB0_17
; %bb.16:
	v_add_nc_u32_e32 v5, 0xa00, v1
	v_add_nc_u32_e32 v7, 0x400, v1
	ds_load_b32 v23, v13
	ds_load_b32 v14, v1 offset:4032
	ds_load_2addr_b32 v[5:6], v5 offset0:8 offset1:188
	ds_load_2addr_b32 v[7:8], v7 offset0:32 offset1:212
	s_wait_dscnt 0x3
	v_lshrrev_b32_e32 v24, 16, v23
	s_wait_dscnt 0x2
	v_lshrrev_b32_e32 v20, 16, v14
	;; [unrolled: 2-line block ×3, first 2 shown]
	v_lshrrev_b32_e32 v21, 16, v6
	s_wait_dscnt 0x0
	v_lshrrev_b32_e32 v26, 16, v7
	v_lshrrev_b32_e32 v27, 16, v8
.LBB0_17:
	s_wait_alu 0xfffe
	s_or_b32 exec_lo, exec_lo, s1
	v_subrev_nc_u32_e32 v28, 60, v0
	v_cmp_gt_u32_e64 s1, 60, v0
	v_and_b32_e32 v31, 0xff, v4
	v_mov_b32_e32 v29, 0
	s_wait_dscnt 0x3
	v_lshrrev_b32_e32 v44, 16, v11
	s_wait_dscnt 0x2
	v_lshrrev_b32_e32 v45, 16, v9
	s_wait_alu 0xf1ff
	v_cndmask_b32_e64 v39, v28, v0, s1
	v_mul_lo_u16 v33, 0x89, v31
	s_wait_dscnt 0x0
	v_lshrrev_b32_e32 v47, 16, v30
	v_lshrrev_b32_e32 v46, 16, v10
	;; [unrolled: 1-line block ×3, first 2 shown]
	v_mul_i32_i24_e32 v28, 5, v39
	v_lshlrev_b32_e32 v39, 2, v39
	s_delay_alu instid0(VALU_DEP_2) | instskip(SKIP_1) | instid1(VALU_DEP_1)
	v_lshlrev_b64_e32 v[31:32], 2, v[28:29]
	v_lshrrev_b16 v28, 13, v33
	v_mul_lo_u16 v29, v28, 60
	s_delay_alu instid0(VALU_DEP_3) | instskip(SKIP_1) | instid1(VALU_DEP_4)
	v_add_co_u32 v35, s1, s4, v31
	s_wait_alu 0xf1ff
	v_add_co_ci_u32_e64 v36, s1, s5, v32, s1
	s_delay_alu instid0(VALU_DEP_3)
	v_sub_nc_u16 v29, v4, v29
	s_clause 0x1
	global_load_b128 v[31:34], v[35:36], off offset:216
	global_load_b32 v40, v[35:36], off offset:232
	v_cmp_lt_u32_e64 s1, 59, v0
	v_and_b32_e32 v29, 0xff, v29
	s_wait_alu 0xf1ff
	s_delay_alu instid0(VALU_DEP_2) | instskip(NEXT) | instid1(VALU_DEP_2)
	v_cndmask_b32_e64 v42, 0, 0x5a0, s1
	v_mul_u32_u24_e32 v35, 5, v29
	s_delay_alu instid0(VALU_DEP_2) | instskip(NEXT) | instid1(VALU_DEP_2)
	v_add_nc_u32_e32 v42, 0, v42
	v_lshlrev_b32_e32 v41, 2, v35
	s_clause 0x1
	global_load_b128 v[35:38], v41, s[4:5] offset:216
	global_load_b32 v41, v41, s[4:5] offset:232
	v_add3_u32 v39, v42, v39, v18
	v_lshrrev_b32_e32 v42, 16, v12
	global_wb scope:SCOPE_SE
	s_wait_loadcnt 0x0
	s_barrier_signal -1
	s_barrier_wait -1
	v_add_nc_u32_e32 v48, 0x200, v39
	global_inv scope:SCOPE_SE
	v_lshrrev_b32_e32 v49, 16, v31
	v_lshrrev_b32_e32 v50, 16, v32
	;; [unrolled: 1-line block ×5, first 2 shown]
	v_mul_f16_e32 v54, v49, v44
	v_mul_f16_e32 v49, v49, v11
	;; [unrolled: 1-line block ×10, first 2 shown]
	v_fmac_f16_e32 v54, v31, v11
	v_fma_f16 v11, v31, v44, -v49
	v_fmac_f16_e32 v55, v32, v12
	v_fma_f16 v12, v32, v42, -v50
	;; [unrolled: 2-line block ×4, first 2 shown]
	v_lshrrev_b32_e32 v32, 16, v36
	v_lshrrev_b32_e32 v33, 16, v37
	;; [unrolled: 1-line block ×3, first 2 shown]
	v_fmac_f16_e32 v57, v34, v10
	v_fma_f16 v10, v34, v46, -v52
	v_lshrrev_b32_e32 v31, 16, v35
	v_add_f16_e32 v49, v54, v56
	v_add_f16_e32 v50, v56, v58
	v_sub_f16_e32 v51, v9, v30
	v_add_f16_e32 v52, v11, v9
	v_add_f16_e32 v9, v9, v30
	v_sub_f16_e32 v53, v56, v58
	v_mul_f16_e32 v56, v27, v32
	v_mul_f16_e32 v59, v25, v33
	;; [unrolled: 1-line block ×5, first 2 shown]
	v_lshrrev_b32_e32 v34, 16, v38
	v_add_f16_e32 v42, v22, v55
	v_add_f16_e32 v44, v55, v57
	v_sub_f16_e32 v45, v12, v10
	v_add_f16_e32 v46, v43, v12
	v_add_f16_e32 v12, v12, v10
	v_sub_f16_e32 v47, v55, v57
	v_mul_f16_e32 v55, v26, v31
	v_mul_f16_e32 v31, v7, v31
	v_mul_f16_e32 v32, v8, v32
	v_fmac_f16_e32 v11, -0.5, v9
	v_fmac_f16_e32 v56, v8, v36
	v_fmac_f16_e32 v59, v5, v37
	v_fma_f16 v5, v25, v37, -v33
	v_fma_f16 v8, v20, v41, -v40
	v_mul_f16_e32 v60, v21, v34
	v_mul_f16_e32 v34, v6, v34
	v_add_f16_e32 v42, v42, v57
	v_add_f16_e32 v10, v46, v10
	v_fmac_f16_e32 v43, -0.5, v12
	v_add_f16_e32 v12, v49, v58
	v_fmac_f16_e32 v54, -0.5, v50
	v_add_f16_e32 v30, v52, v30
	v_fma_f16 v26, v26, v35, -v31
	v_fmac_f16_e32 v61, v14, v41
	v_fmamk_f16 v14, v53, 0x3aee, v11
	v_fmac_f16_e32 v11, 0xbaee, v53
	v_add_f16_e32 v40, v5, v8
	v_fmac_f16_e32 v22, -0.5, v44
	v_fmac_f16_e32 v55, v7, v35
	v_fma_f16 v7, v27, v36, -v32
	v_fmac_f16_e32 v60, v6, v38
	v_fma_f16 v6, v21, v38, -v34
	v_fmamk_f16 v9, v51, 0xbaee, v54
	v_fmac_f16_e32 v54, 0x3aee, v51
	v_add_f16_e32 v20, v42, v12
	v_add_f16_e32 v27, v10, v30
	;; [unrolled: 1-line block ×4, first 2 shown]
	v_sub_f16_e32 v41, v59, v61
	v_mul_f16_e32 v44, 0xbaee, v11
	v_mul_f16_e32 v11, -0.5, v11
	v_fmac_f16_e32 v26, -0.5, v40
	v_fmamk_f16 v21, v45, 0xbaee, v22
	v_fmac_f16_e32 v22, 0x3aee, v45
	v_fmamk_f16 v25, v47, 0x3aee, v43
	v_fmac_f16_e32 v43, 0xbaee, v47
	v_sub_f16_e32 v12, v42, v12
	v_sub_f16_e32 v10, v10, v30
	v_add_f16_e32 v30, v23, v56
	v_add_f16_e32 v31, v56, v60
	v_sub_f16_e32 v32, v7, v6
	v_add_f16_e32 v33, v24, v7
	v_add_f16_e32 v7, v7, v6
	;; [unrolled: 1-line block ×3, first 2 shown]
	v_sub_f16_e32 v37, v5, v8
	v_mul_f16_e32 v42, 0xbaee, v14
	v_mul_f16_e32 v45, 0.5, v14
	v_pack_b32_f16 v46, v20, v27
	v_fmac_f16_e32 v55, -0.5, v36
	v_fmac_f16_e32 v11, 0x3aee, v54
	v_fmamk_f16 v27, v41, 0x3aee, v26
	v_fmac_f16_e32 v26, 0xbaee, v41
	v_sub_f16_e32 v34, v56, v60
	v_pack_b32_f16 v47, v12, v10
	v_add_f16_e32 v5, v30, v60
	v_fmac_f16_e32 v23, -0.5, v31
	v_fmac_f16_e32 v24, -0.5, v7
	v_add_f16_e32 v7, v35, v61
	v_fmac_f16_e32 v42, 0.5, v9
	v_fmac_f16_e32 v44, -0.5, v54
	v_fmac_f16_e32 v45, 0x3aee, v9
	v_fmamk_f16 v31, v37, 0xbaee, v55
	v_fmac_f16_e32 v55, 0x3aee, v37
	v_add_f16_e32 v35, v43, v11
	v_sub_f16_e32 v36, v43, v11
	v_mul_f16_e32 v11, 0xbaee, v27
	v_mul_f16_e32 v12, 0xbaee, v26
	v_mul_f16_e32 v27, 0.5, v27
	v_mul_f16_e32 v30, -0.5, v26
	v_add_f16_e32 v6, v33, v6
	v_add_f16_e32 v8, v38, v8
	v_fmamk_f16 v9, v32, 0xbaee, v23
	v_fmac_f16_e32 v23, 0x3aee, v32
	v_fmamk_f16 v10, v34, 0x3aee, v24
	v_fmac_f16_e32 v24, 0xbaee, v34
	v_add_f16_e32 v32, v21, v42
	v_add_f16_e32 v33, v22, v44
	;; [unrolled: 1-line block ×3, first 2 shown]
	v_sub_f16_e32 v21, v21, v42
	v_sub_f16_e32 v22, v22, v44
	;; [unrolled: 1-line block ×3, first 2 shown]
	v_fmac_f16_e32 v11, 0.5, v31
	v_fmac_f16_e32 v12, -0.5, v55
	v_fmac_f16_e32 v27, 0x3aee, v31
	v_fmac_f16_e32 v30, 0x3aee, v55
	v_sub_f16_e32 v14, v5, v7
	v_sub_f16_e32 v20, v6, v8
	v_pack_b32_f16 v32, v32, v34
	v_pack_b32_f16 v34, v21, v25
	;; [unrolled: 1-line block ×3, first 2 shown]
	v_sub_f16_e32 v22, v9, v11
	v_sub_f16_e32 v21, v23, v12
	v_sub_f16_e32 v26, v10, v27
	v_sub_f16_e32 v25, v24, v30
	v_pack_b32_f16 v33, v33, v35
	ds_store_2addr_b32 v39, v46, v32 offset1:60
	ds_store_2addr_b32 v39, v33, v47 offset0:120 offset1:180
	ds_store_2addr_b32 v48, v34, v31 offset0:112 offset1:172
	s_and_saveexec_b32 s1, s0
	s_cbranch_execz .LBB0_19
; %bb.18:
	v_and_b32_e32 v28, 0xffff, v28
	v_add_f16_e32 v6, v6, v8
	v_add_f16_e32 v5, v5, v7
	v_lshlrev_b32_e32 v8, 2, v29
	v_add_f16_e32 v10, v10, v27
	v_mad_u32_u24 v7, 0x5a0, v28, 0
	v_add_f16_e32 v9, v9, v11
	v_add_f16_e32 v24, v24, v30
	;; [unrolled: 1-line block ×3, first 2 shown]
	v_pack_b32_f16 v5, v5, v6
	v_add3_u32 v6, v7, v8, v18
	v_pack_b32_f16 v7, v9, v10
	v_perm_b32 v9, v20, v14, 0x5040100
	v_pack_b32_f16 v8, v11, v24
	v_perm_b32 v10, v26, v22, 0x5040100
	v_perm_b32 v11, v25, v21, 0x5040100
	v_add_nc_u32_e32 v12, 0x200, v6
	ds_store_2addr_b32 v6, v5, v7 offset1:60
	ds_store_2addr_b32 v6, v8, v9 offset0:120 offset1:180
	ds_store_2addr_b32 v12, v10, v11 offset0:112 offset1:172
.LBB0_19:
	s_wait_alu 0xfffe
	s_or_b32 exec_lo, exec_lo, s1
	v_add_nc_u32_e32 v5, 0x200, v1
	v_add_nc_u32_e32 v7, 0xa00, v1
	;; [unrolled: 1-line block ×3, first 2 shown]
	global_wb scope:SCOPE_SE
	s_wait_dscnt 0x0
	s_barrier_signal -1
	s_barrier_wait -1
	global_inv scope:SCOPE_SE
	ds_load_b32 v24, v15
	ds_load_2addr_b32 v[5:6], v5 offset0:88 offset1:232
	ds_load_2addr_b32 v[11:12], v7 offset0:80 offset1:188
	;; [unrolled: 1-line block ×3, first 2 shown]
	ds_load_b32 v23, v13
	ds_load_b32 v27, v1 offset:3744
	v_mul_i32_i24_e32 v28, 0xffffffec, v0
	v_cmp_gt_u32_e64 s0, 36, v0
	s_delay_alu instid0(VALU_DEP_1)
	s_and_saveexec_b32 s1, s0
	s_cbranch_execz .LBB0_21
; %bb.20:
	ds_load_b32 v14, v1 offset:1296
	ds_load_b32 v21, v1 offset:4176
	;; [unrolled: 1-line block ×3, first 2 shown]
	s_wait_dscnt 0x2
	v_lshrrev_b32_e32 v20, 16, v14
	s_wait_dscnt 0x1
	v_lshrrev_b32_e32 v25, 16, v21
	;; [unrolled: 2-line block ×3, first 2 shown]
.LBB0_21:
	s_wait_alu 0xfffe
	s_or_b32 exec_lo, exec_lo, s1
	v_dual_mov_b32 v8, 0 :: v_dual_lshlrev_b32 v7, 1, v0
	v_lshlrev_b32_e32 v31, 1, v4
	s_wait_dscnt 0x3
	v_lshrrev_b32_e32 v39, 16, v11
	v_lshrrev_b32_e32 v40, 16, v6
	v_add3_u32 v18, v19, v28, v18
	v_mov_b32_e32 v32, v8
	v_lshlrev_b64_e32 v[29:30], 2, v[7:8]
	v_add_nc_u32_e32 v7, 0x1b0, v7
	s_wait_dscnt 0x2
	v_lshrrev_b32_e32 v28, 16, v10
	v_lshrrev_b32_e32 v37, 16, v12
	v_lshlrev_b64_e32 v[31:32], 2, v[31:32]
	v_lshrrev_b32_e32 v38, 16, v9
	v_add_co_u32 v29, s1, s4, v29
	v_lshlrev_b64_e32 v[33:34], 2, v[7:8]
	s_wait_alu 0xf1ff
	v_add_co_ci_u32_e64 v30, s1, s5, v30, s1
	v_add_co_u32 v31, s1, s4, v31
	s_wait_alu 0xf1ff
	v_add_co_ci_u32_e64 v32, s1, s5, v32, s1
	v_add_co_u32 v33, s1, s4, v33
	global_load_b64 v[29:30], v[29:30], off offset:1416
	s_wait_alu 0xf1ff
	v_add_co_ci_u32_e64 v34, s1, s5, v34, s1
	s_clause 0x1
	global_load_b64 v[31:32], v[31:32], off offset:1416
	global_load_b64 v[33:34], v[33:34], off offset:1416
	v_lshrrev_b32_e32 v7, 16, v24
	s_wait_dscnt 0x0
	v_lshrrev_b32_e32 v19, 16, v27
	v_lshrrev_b32_e32 v35, 16, v23
	;; [unrolled: 1-line block ×3, first 2 shown]
	global_wb scope:SCOPE_SE
	s_wait_loadcnt 0x0
	s_barrier_signal -1
	s_barrier_wait -1
	global_inv scope:SCOPE_SE
	v_lshrrev_b32_e32 v41, 16, v29
	v_lshrrev_b32_e32 v42, 16, v30
	;; [unrolled: 1-line block ×3, first 2 shown]
	s_delay_alu instid0(VALU_DEP_3) | instskip(SKIP_1) | instid1(VALU_DEP_4)
	v_mul_f16_e32 v43, v41, v40
	v_mul_f16_e32 v41, v41, v6
	v_mul_f16_e32 v44, v42, v39
	v_mul_f16_e32 v42, v42, v11
	v_lshrrev_b32_e32 v46, 16, v32
	v_lshrrev_b32_e32 v47, 16, v33
	;; [unrolled: 1-line block ×3, first 2 shown]
	v_fmac_f16_e32 v43, v29, v6
	v_fma_f16 v6, v29, v40, -v41
	v_fmac_f16_e32 v44, v30, v11
	v_fma_f16 v11, v30, v39, -v42
	v_mul_f16_e32 v29, v45, v38
	v_mul_f16_e32 v30, v45, v9
	;; [unrolled: 1-line block ×8, first 2 shown]
	v_fmac_f16_e32 v29, v31, v9
	v_fma_f16 v9, v31, v38, -v30
	v_fmac_f16_e32 v39, v32, v12
	v_fma_f16 v12, v32, v37, -v40
	;; [unrolled: 2-line block ×3, first 2 shown]
	v_add_f16_e32 v28, v43, v44
	v_add_f16_e32 v31, v7, v6
	v_sub_f16_e32 v30, v6, v11
	v_add_f16_e32 v6, v6, v11
	v_fmac_f16_e32 v45, v34, v27
	v_fma_f16 v19, v34, v19, -v46
	v_add_f16_e32 v27, v24, v43
	v_fmac_f16_e32 v24, -0.5, v28
	v_add_f16_e32 v11, v31, v11
	v_add_f16_e32 v28, v29, v39
	v_sub_f16_e32 v31, v9, v12
	v_add_f16_e32 v33, v35, v9
	v_add_f16_e32 v9, v9, v12
	v_sub_f16_e32 v32, v43, v44
	v_fmac_f16_e32 v7, -0.5, v6
	v_add_f16_e32 v6, v23, v29
	v_add_f16_e32 v27, v27, v44
	v_sub_f16_e32 v29, v29, v39
	v_sub_f16_e32 v38, v10, v19
	v_add_f16_e32 v40, v36, v10
	v_add_f16_e32 v10, v10, v19
	v_fmac_f16_e32 v23, -0.5, v28
	v_fmac_f16_e32 v35, -0.5, v9
	v_add_f16_e32 v34, v5, v41
	v_add_f16_e32 v37, v41, v45
	v_fmamk_f16 v42, v30, 0xbaee, v24
	v_fmac_f16_e32 v24, 0x3aee, v30
	v_fmamk_f16 v30, v32, 0x3aee, v7
	v_fmac_f16_e32 v7, 0xbaee, v32
	v_add_f16_e32 v6, v6, v39
	v_add_f16_e32 v12, v33, v12
	v_fmac_f16_e32 v36, -0.5, v10
	v_pack_b32_f16 v10, v27, v11
	v_fmamk_f16 v11, v31, 0xbaee, v23
	v_fmamk_f16 v27, v29, 0x3aee, v35
	v_sub_f16_e32 v41, v41, v45
	v_add_f16_e32 v9, v34, v45
	v_fmac_f16_e32 v5, -0.5, v37
	v_add_f16_e32 v19, v40, v19
	v_fmac_f16_e32 v23, 0x3aee, v31
	v_fmac_f16_e32 v35, 0xbaee, v29
	v_pack_b32_f16 v30, v42, v30
	v_pack_b32_f16 v7, v24, v7
	;; [unrolled: 1-line block ×4, first 2 shown]
	v_fmamk_f16 v28, v38, 0xbaee, v5
	v_fmac_f16_e32 v5, 0x3aee, v38
	v_fmamk_f16 v29, v41, 0x3aee, v36
	v_fmac_f16_e32 v36, 0xbaee, v41
	v_pack_b32_f16 v9, v9, v19
	v_pack_b32_f16 v12, v23, v35
	ds_store_b32 v1, v10
	ds_store_b32 v1, v30 offset:1440
	ds_store_b32 v1, v7 offset:2880
	ds_store_b32 v13, v6
	ds_store_b32 v13, v11 offset:1440
	ds_store_b32 v13, v12 offset:2880
	;; [unrolled: 1-line block ×3, first 2 shown]
	ds_store_b16 v18, v28 offset:2304
	ds_store_b16 v18, v29 offset:2306
	;; [unrolled: 1-line block ×4, first 2 shown]
	s_and_saveexec_b32 s1, s0
	s_cbranch_execz .LBB0_23
; %bb.22:
	v_mov_b32_e32 v5, 0x144
	s_delay_alu instid0(VALU_DEP_1) | instskip(NEXT) | instid1(VALU_DEP_1)
	v_cndmask_b32_e64 v5, 0xffffffdc, v5, s0
	v_add_lshl_u32 v7, v0, v5, 1
	s_delay_alu instid0(VALU_DEP_1) | instskip(NEXT) | instid1(VALU_DEP_1)
	v_lshlrev_b64_e32 v[5:6], 2, v[7:8]
	v_add_co_u32 v5, s0, s4, v5
	s_wait_alu 0xf1ff
	s_delay_alu instid0(VALU_DEP_2) | instskip(SKIP_4) | instid1(VALU_DEP_2)
	v_add_co_ci_u32_e64 v6, s0, s5, v6, s0
	global_load_b64 v[5:6], v[5:6], off offset:1416
	s_wait_loadcnt 0x0
	v_lshrrev_b32_e32 v7, 16, v5
	v_lshrrev_b32_e32 v8, 16, v6
	v_mul_f16_e32 v9, v22, v7
	s_delay_alu instid0(VALU_DEP_2) | instskip(SKIP_2) | instid1(VALU_DEP_4)
	v_mul_f16_e32 v10, v21, v8
	v_mul_f16_e32 v7, v26, v7
	;; [unrolled: 1-line block ×3, first 2 shown]
	v_fma_f16 v9, v26, v5, -v9
	s_delay_alu instid0(VALU_DEP_4) | instskip(NEXT) | instid1(VALU_DEP_4)
	v_fma_f16 v10, v25, v6, -v10
	v_fmac_f16_e32 v7, v22, v5
	s_delay_alu instid0(VALU_DEP_4) | instskip(NEXT) | instid1(VALU_DEP_4)
	v_fmac_f16_e32 v8, v21, v6
	v_add_f16_e32 v12, v20, v9
	s_delay_alu instid0(VALU_DEP_4) | instskip(SKIP_1) | instid1(VALU_DEP_4)
	v_add_f16_e32 v5, v9, v10
	v_sub_f16_e32 v9, v9, v10
	v_add_f16_e32 v11, v7, v8
	v_sub_f16_e32 v6, v7, v8
	v_add_f16_e32 v7, v14, v7
	v_fma_f16 v5, -0.5, v5, v20
	v_add_f16_e32 v10, v12, v10
	v_fma_f16 v11, -0.5, v11, v14
	s_delay_alu instid0(VALU_DEP_4) | instskip(NEXT) | instid1(VALU_DEP_4)
	v_add_f16_e32 v7, v7, v8
	v_fmamk_f16 v8, v6, 0xbaee, v5
	v_fmac_f16_e32 v5, 0x3aee, v6
	s_delay_alu instid0(VALU_DEP_4) | instskip(SKIP_2) | instid1(VALU_DEP_3)
	v_fmamk_f16 v6, v9, 0x3aee, v11
	v_fmac_f16_e32 v11, 0xbaee, v9
	v_pack_b32_f16 v7, v7, v10
	v_pack_b32_f16 v6, v6, v8
	s_delay_alu instid0(VALU_DEP_3)
	v_pack_b32_f16 v5, v11, v5
	ds_store_b32 v1, v7 offset:1296
	ds_store_b32 v1, v5 offset:2736
	;; [unrolled: 1-line block ×3, first 2 shown]
.LBB0_23:
	s_wait_alu 0xfffe
	s_or_b32 exec_lo, exec_lo, s1
	global_wb scope:SCOPE_SE
	s_wait_dscnt 0x0
	s_barrier_signal -1
	s_barrier_wait -1
	global_inv scope:SCOPE_SE
	ds_load_b32 v5, v15
	v_sub_nc_u32_e32 v8, v16, v17
	s_mov_b32 s1, exec_lo
                                        ; implicit-def: $vgpr10
                                        ; implicit-def: $vgpr9
                                        ; implicit-def: $vgpr6_vgpr7
	s_wait_dscnt 0x0
	v_lshrrev_b32_e32 v11, 16, v5
	v_cmpx_ne_u32_e32 0, v0
	s_wait_alu 0xfffe
	s_xor_b32 s1, exec_lo, s1
	s_cbranch_execz .LBB0_25
; %bb.24:
	v_mov_b32_e32 v1, 0
	s_delay_alu instid0(VALU_DEP_1) | instskip(NEXT) | instid1(VALU_DEP_1)
	v_lshlrev_b64_e32 v[6:7], 2, v[0:1]
	v_add_co_u32 v6, s0, s4, v6
	s_wait_alu 0xf1ff
	s_delay_alu instid0(VALU_DEP_2)
	v_add_co_ci_u32_e64 v7, s0, s5, v7, s0
	global_load_b32 v6, v[6:7], off offset:4296
	ds_load_b32 v7, v8 offset:4320
	s_wait_dscnt 0x0
	v_lshrrev_b32_e32 v9, 16, v7
	v_sub_f16_e32 v10, v5, v7
	v_add_f16_e32 v5, v7, v5
	s_delay_alu instid0(VALU_DEP_3) | instskip(SKIP_1) | instid1(VALU_DEP_4)
	v_add_f16_e32 v12, v9, v11
	v_sub_f16_e32 v9, v11, v9
	v_mul_f16_e32 v10, 0.5, v10
	s_delay_alu instid0(VALU_DEP_3) | instskip(NEXT) | instid1(VALU_DEP_3)
	v_mul_f16_e32 v12, 0.5, v12
	v_mul_f16_e32 v9, 0.5, v9
	s_wait_loadcnt 0x0
	v_lshrrev_b32_e32 v11, 16, v6
	s_delay_alu instid0(VALU_DEP_1) | instskip(NEXT) | instid1(VALU_DEP_3)
	v_mul_f16_e32 v7, v11, v10
	v_fma_f16 v13, v12, v11, v9
	v_fma_f16 v11, v12, v11, -v9
	s_delay_alu instid0(VALU_DEP_3) | instskip(SKIP_1) | instid1(VALU_DEP_4)
	v_fma_f16 v9, 0.5, v5, v7
	v_fma_f16 v5, v5, 0.5, -v7
	v_fma_f16 v13, -v6, v10, v13
	s_delay_alu instid0(VALU_DEP_4)
	v_fma_f16 v11, -v6, v10, v11
	ds_store_b16 v15, v13 offset:2
	ds_store_b16 v8, v11 offset:4322
	v_fmac_f16_e32 v9, v6, v12
	v_fma_f16 v10, -v6, v12, v5
	v_dual_mov_b32 v7, v1 :: v_dual_mov_b32 v6, v0
                                        ; implicit-def: $vgpr11
                                        ; implicit-def: $vgpr5
.LBB0_25:
	s_wait_alu 0xfffe
	s_and_not1_saveexec_b32 s0, s1
	s_cbranch_execz .LBB0_27
; %bb.26:
	v_dual_mov_b32 v1, 0 :: v_dual_mov_b32 v6, 0
	v_add_f16_e32 v9, v11, v5
	v_mov_b32_e32 v7, 0
	v_sub_f16_e32 v10, v5, v11
	ds_store_b16 v15, v1 offset:2
	ds_store_b16 v8, v1 offset:4322
	ds_load_u16 v1, v16 offset:2162
	s_wait_dscnt 0x0
	v_xor_b32_e32 v1, 0x8000, v1
	ds_store_b16 v16, v1 offset:2162
.LBB0_27:
	s_wait_alu 0xfffe
	s_or_b32 exec_lo, exec_lo, s0
	v_mov_b32_e32 v5, 0
	s_delay_alu instid0(VALU_DEP_1) | instskip(SKIP_2) | instid1(VALU_DEP_3)
	v_lshlrev_b64_e32 v[11:12], 2, v[4:5]
	v_lshlrev_b64_e32 v[5:6], 2, v[6:7]
	v_lshl_add_u32 v4, v4, 2, v16
	v_add_co_u32 v11, s0, s4, v11
	s_wait_alu 0xf1ff
	s_delay_alu instid0(VALU_DEP_4)
	v_add_co_ci_u32_e64 v12, s0, s5, v12, s0
	s_add_nc_u64 s[0:1], s[4:5], 0x10c8
	global_load_b32 v1, v[11:12], off offset:4296
	s_wait_alu 0xfffe
	v_add_co_u32 v11, s0, s0, v5
	s_wait_alu 0xf1ff
	v_add_co_ci_u32_e64 v12, s0, s1, v6, s0
	s_clause 0x2
	global_load_b32 v7, v[11:12], off offset:864
	global_load_b32 v13, v[11:12], off offset:1296
	;; [unrolled: 1-line block ×3, first 2 shown]
	ds_store_b16 v15, v9
	ds_store_b16 v8, v10 offset:4320
	ds_load_b32 v9, v4
	ds_load_b32 v10, v8 offset:3888
	s_wait_dscnt 0x0
	v_pk_add_f16 v12, v9, v10 neg_lo:[0,1] neg_hi:[0,1]
	v_pk_add_f16 v9, v9, v10
	s_delay_alu instid0(VALU_DEP_1) | instskip(SKIP_1) | instid1(VALU_DEP_2)
	v_bfi_b32 v10, 0xffff, v12, v9
	v_bfi_b32 v9, 0xffff, v9, v12
	v_pk_mul_f16 v10, v10, 0.5 op_sel_hi:[1,0]
	s_delay_alu instid0(VALU_DEP_2) | instskip(SKIP_1) | instid1(VALU_DEP_1)
	v_pk_mul_f16 v9, v9, 0.5 op_sel_hi:[1,0]
	s_wait_loadcnt 0x3
	v_pk_fma_f16 v12, v1, v10, v9 op_sel:[1,0,0]
	v_pk_mul_f16 v14, v1, v10 op_sel_hi:[0,1]
	v_pk_fma_f16 v16, v1, v10, v9 op_sel:[1,0,0] neg_lo:[1,0,0] neg_hi:[1,0,0]
	v_pk_fma_f16 v1, v1, v10, v9 op_sel:[1,0,0] neg_lo:[0,0,1] neg_hi:[0,0,1]
	s_delay_alu instid0(VALU_DEP_3) | instskip(SKIP_1) | instid1(VALU_DEP_4)
	v_pk_add_f16 v9, v12, v14 op_sel:[0,1] op_sel_hi:[1,0]
	v_pk_add_f16 v10, v12, v14 op_sel:[0,1] op_sel_hi:[1,0] neg_lo:[0,1] neg_hi:[0,1]
	v_pk_add_f16 v12, v16, v14 op_sel:[0,1] op_sel_hi:[1,0] neg_lo:[0,1] neg_hi:[0,1]
	s_delay_alu instid0(VALU_DEP_4) | instskip(NEXT) | instid1(VALU_DEP_3)
	v_pk_add_f16 v1, v1, v14 op_sel:[0,1] op_sel_hi:[1,0] neg_lo:[0,1] neg_hi:[0,1]
	v_bfi_b32 v9, 0xffff, v9, v10
	s_delay_alu instid0(VALU_DEP_2)
	v_bfi_b32 v1, 0xffff, v12, v1
	ds_store_b32 v4, v9
	ds_store_b32 v8, v1 offset:3888
	ds_load_b32 v1, v15 offset:864
	ds_load_b32 v4, v8 offset:3456
	s_wait_dscnt 0x0
	v_pk_add_f16 v9, v1, v4 neg_lo:[0,1] neg_hi:[0,1]
	v_pk_add_f16 v1, v1, v4
	s_delay_alu instid0(VALU_DEP_1) | instskip(SKIP_1) | instid1(VALU_DEP_2)
	v_bfi_b32 v4, 0xffff, v9, v1
	v_bfi_b32 v1, 0xffff, v1, v9
	v_pk_mul_f16 v4, v4, 0.5 op_sel_hi:[1,0]
	s_delay_alu instid0(VALU_DEP_2) | instskip(SKIP_1) | instid1(VALU_DEP_2)
	v_pk_mul_f16 v9, v1, 0.5 op_sel_hi:[1,0]
	s_wait_loadcnt 0x2
	v_pk_mul_f16 v10, v7, v4 op_sel:[1,0]
	v_pk_mul_f16 v4, v7, v4 op_sel_hi:[0,1]
	s_delay_alu instid0(VALU_DEP_3) | instskip(NEXT) | instid1(VALU_DEP_3)
	v_lshrrev_b32_e32 v7, 16, v9
	v_lshrrev_b32_e32 v12, 16, v10
	v_pk_fma_f16 v1, v1, 0.5, v10 op_sel_hi:[1,0,1]
	v_sub_f16_e32 v9, v9, v10
	s_delay_alu instid0(VALU_DEP_3) | instskip(NEXT) | instid1(VALU_DEP_3)
	v_sub_f16_e32 v7, v12, v7
	v_pk_add_f16 v10, v1, v4 op_sel:[0,1] op_sel_hi:[1,0]
	v_pk_add_f16 v1, v1, v4 op_sel:[0,1] op_sel_hi:[1,0] neg_lo:[0,1] neg_hi:[0,1]
	v_lshrrev_b32_e32 v12, 16, v4
	s_delay_alu instid0(VALU_DEP_4) | instskip(NEXT) | instid1(VALU_DEP_3)
	v_sub_f16_e32 v4, v7, v4
	v_bfi_b32 v1, 0xffff, v10, v1
	s_delay_alu instid0(VALU_DEP_3)
	v_sub_f16_e32 v7, v9, v12
	ds_store_b16 v8, v4 offset:3458
	ds_store_b32 v15, v1 offset:864
	ds_store_b16 v8, v7 offset:3456
	ds_load_b32 v1, v15 offset:1296
	ds_load_b32 v4, v8 offset:3024
	s_wait_dscnt 0x0
	v_pk_add_f16 v7, v1, v4 neg_lo:[0,1] neg_hi:[0,1]
	v_pk_add_f16 v1, v1, v4
	s_delay_alu instid0(VALU_DEP_1) | instskip(SKIP_1) | instid1(VALU_DEP_2)
	v_bfi_b32 v4, 0xffff, v7, v1
	v_bfi_b32 v1, 0xffff, v1, v7
	v_pk_mul_f16 v4, v4, 0.5 op_sel_hi:[1,0]
	s_delay_alu instid0(VALU_DEP_2) | instskip(SKIP_1) | instid1(VALU_DEP_2)
	v_pk_mul_f16 v7, v1, 0.5 op_sel_hi:[1,0]
	s_wait_loadcnt 0x1
	v_pk_mul_f16 v9, v13, v4 op_sel:[1,0]
	s_delay_alu instid0(VALU_DEP_2) | instskip(SKIP_1) | instid1(VALU_DEP_3)
	v_lshrrev_b32_e32 v10, 16, v7
	v_pk_mul_f16 v4, v13, v4 op_sel_hi:[0,1]
	v_lshrrev_b32_e32 v12, 16, v9
	v_pk_fma_f16 v1, v1, 0.5, v9 op_sel_hi:[1,0,1]
	v_sub_f16_e32 v7, v7, v9
	s_delay_alu instid0(VALU_DEP_3) | instskip(NEXT) | instid1(VALU_DEP_3)
	v_sub_f16_e32 v10, v12, v10
	v_pk_add_f16 v9, v1, v4 op_sel:[0,1] op_sel_hi:[1,0]
	v_pk_add_f16 v1, v1, v4 op_sel:[0,1] op_sel_hi:[1,0] neg_lo:[0,1] neg_hi:[0,1]
	v_lshrrev_b32_e32 v12, 16, v4
	s_delay_alu instid0(VALU_DEP_4) | instskip(NEXT) | instid1(VALU_DEP_3)
	v_sub_f16_e32 v4, v10, v4
	v_bfi_b32 v1, 0xffff, v9, v1
	s_delay_alu instid0(VALU_DEP_3)
	v_sub_f16_e32 v7, v7, v12
	ds_store_b16 v8, v4 offset:3026
	ds_store_b32 v15, v1 offset:1296
	ds_store_b16 v8, v7 offset:3024
	ds_load_b32 v1, v15 offset:1728
	ds_load_b32 v4, v8 offset:2592
	s_wait_dscnt 0x0
	v_pk_add_f16 v7, v1, v4 neg_lo:[0,1] neg_hi:[0,1]
	v_pk_add_f16 v1, v1, v4
	s_delay_alu instid0(VALU_DEP_1) | instskip(SKIP_1) | instid1(VALU_DEP_2)
	v_bfi_b32 v4, 0xffff, v7, v1
	v_bfi_b32 v1, 0xffff, v1, v7
	v_pk_mul_f16 v4, v4, 0.5 op_sel_hi:[1,0]
	s_delay_alu instid0(VALU_DEP_2) | instskip(SKIP_1) | instid1(VALU_DEP_2)
	v_pk_mul_f16 v1, v1, 0.5 op_sel_hi:[1,0]
	s_wait_loadcnt 0x0
	v_pk_mul_f16 v9, v11, v4 op_sel_hi:[0,1]
	s_delay_alu instid0(VALU_DEP_2) | instskip(SKIP_2) | instid1(VALU_DEP_3)
	v_pk_fma_f16 v7, v11, v4, v1 op_sel:[1,0,0]
	v_pk_fma_f16 v10, v11, v4, v1 op_sel:[1,0,0] neg_lo:[1,0,0] neg_hi:[1,0,0]
	v_pk_fma_f16 v1, v11, v4, v1 op_sel:[1,0,0] neg_lo:[0,0,1] neg_hi:[0,0,1]
	v_pk_add_f16 v4, v7, v9 op_sel:[0,1] op_sel_hi:[1,0]
	v_pk_add_f16 v7, v7, v9 op_sel:[0,1] op_sel_hi:[1,0] neg_lo:[0,1] neg_hi:[0,1]
	s_delay_alu instid0(VALU_DEP_4) | instskip(NEXT) | instid1(VALU_DEP_4)
	v_pk_add_f16 v10, v10, v9 op_sel:[0,1] op_sel_hi:[1,0] neg_lo:[0,1] neg_hi:[0,1]
	v_pk_add_f16 v1, v1, v9 op_sel:[0,1] op_sel_hi:[1,0] neg_lo:[0,1] neg_hi:[0,1]
	s_delay_alu instid0(VALU_DEP_3) | instskip(NEXT) | instid1(VALU_DEP_2)
	v_bfi_b32 v4, 0xffff, v4, v7
	v_bfi_b32 v1, 0xffff, v10, v1
	ds_store_b32 v15, v4 offset:1728
	ds_store_b32 v8, v1 offset:2592
	global_wb scope:SCOPE_SE
	s_wait_dscnt 0x0
	s_barrier_signal -1
	s_barrier_wait -1
	global_inv scope:SCOPE_SE
	s_and_saveexec_b32 s0, vcc_lo
	s_cbranch_execz .LBB0_30
; %bb.28:
	v_add_nc_u32_e32 v1, 0x200, v15
	v_add_nc_u32_e32 v4, 0x600, v15
	;; [unrolled: 1-line block ×4, first 2 shown]
	ds_load_2addr_b32 v[7:8], v15 offset1:108
	ds_load_2addr_b32 v[9:10], v1 offset0:88 offset1:196
	ds_load_2addr_b32 v[11:12], v4 offset0:48 offset1:156
	;; [unrolled: 1-line block ×4, first 2 shown]
	v_add_co_u32 v1, vcc_lo, s8, v2
	s_wait_alu 0xfffd
	v_add_co_ci_u32_e32 v2, vcc_lo, s9, v3, vcc_lo
	s_delay_alu instid0(VALU_DEP_2) | instskip(SKIP_1) | instid1(VALU_DEP_2)
	v_add_co_u32 v3, vcc_lo, v1, v5
	s_wait_alu 0xfffd
	v_add_co_ci_u32_e32 v4, vcc_lo, v2, v6, vcc_lo
	v_cmp_eq_u32_e32 vcc_lo, 0x6b, v0
	s_wait_dscnt 0x4
	s_clause 0x1
	global_store_b32 v[3:4], v7, off
	global_store_b32 v[3:4], v8, off offset:432
	s_wait_dscnt 0x3
	s_clause 0x1
	global_store_b32 v[3:4], v9, off offset:864
	global_store_b32 v[3:4], v10, off offset:1296
	s_wait_dscnt 0x2
	s_clause 0x1
	global_store_b32 v[3:4], v11, off offset:1728
	;; [unrolled: 4-line block ×4, first 2 shown]
	global_store_b32 v[3:4], v17, off offset:3888
	s_and_b32 exec_lo, exec_lo, vcc_lo
	s_cbranch_execz .LBB0_30
; %bb.29:
	ds_load_b32 v0, v15 offset:3892
	s_wait_dscnt 0x0
	global_store_b32 v[1:2], v0, off offset:4320
.LBB0_30:
	s_nop 0
	s_sendmsg sendmsg(MSG_DEALLOC_VGPRS)
	s_endpgm
	.section	.rodata,"a",@progbits
	.p2align	6, 0x0
	.amdhsa_kernel fft_rtc_back_len1080_factors_6_10_6_3_wgs_216_tpt_108_halfLds_half_ip_CI_unitstride_sbrr_R2C_dirReg
		.amdhsa_group_segment_fixed_size 0
		.amdhsa_private_segment_fixed_size 0
		.amdhsa_kernarg_size 88
		.amdhsa_user_sgpr_count 2
		.amdhsa_user_sgpr_dispatch_ptr 0
		.amdhsa_user_sgpr_queue_ptr 0
		.amdhsa_user_sgpr_kernarg_segment_ptr 1
		.amdhsa_user_sgpr_dispatch_id 0
		.amdhsa_user_sgpr_private_segment_size 0
		.amdhsa_wavefront_size32 1
		.amdhsa_uses_dynamic_stack 0
		.amdhsa_enable_private_segment 0
		.amdhsa_system_sgpr_workgroup_id_x 1
		.amdhsa_system_sgpr_workgroup_id_y 0
		.amdhsa_system_sgpr_workgroup_id_z 0
		.amdhsa_system_sgpr_workgroup_info 0
		.amdhsa_system_vgpr_workitem_id 0
		.amdhsa_next_free_vgpr 70
		.amdhsa_next_free_sgpr 32
		.amdhsa_reserve_vcc 1
		.amdhsa_float_round_mode_32 0
		.amdhsa_float_round_mode_16_64 0
		.amdhsa_float_denorm_mode_32 3
		.amdhsa_float_denorm_mode_16_64 3
		.amdhsa_fp16_overflow 0
		.amdhsa_workgroup_processor_mode 1
		.amdhsa_memory_ordered 1
		.amdhsa_forward_progress 0
		.amdhsa_round_robin_scheduling 0
		.amdhsa_exception_fp_ieee_invalid_op 0
		.amdhsa_exception_fp_denorm_src 0
		.amdhsa_exception_fp_ieee_div_zero 0
		.amdhsa_exception_fp_ieee_overflow 0
		.amdhsa_exception_fp_ieee_underflow 0
		.amdhsa_exception_fp_ieee_inexact 0
		.amdhsa_exception_int_div_zero 0
	.end_amdhsa_kernel
	.text
.Lfunc_end0:
	.size	fft_rtc_back_len1080_factors_6_10_6_3_wgs_216_tpt_108_halfLds_half_ip_CI_unitstride_sbrr_R2C_dirReg, .Lfunc_end0-fft_rtc_back_len1080_factors_6_10_6_3_wgs_216_tpt_108_halfLds_half_ip_CI_unitstride_sbrr_R2C_dirReg
                                        ; -- End function
	.section	.AMDGPU.csdata,"",@progbits
; Kernel info:
; codeLenInByte = 8444
; NumSgprs: 34
; NumVgprs: 70
; ScratchSize: 0
; MemoryBound: 0
; FloatMode: 240
; IeeeMode: 1
; LDSByteSize: 0 bytes/workgroup (compile time only)
; SGPRBlocks: 4
; VGPRBlocks: 8
; NumSGPRsForWavesPerEU: 34
; NumVGPRsForWavesPerEU: 70
; Occupancy: 16
; WaveLimiterHint : 1
; COMPUTE_PGM_RSRC2:SCRATCH_EN: 0
; COMPUTE_PGM_RSRC2:USER_SGPR: 2
; COMPUTE_PGM_RSRC2:TRAP_HANDLER: 0
; COMPUTE_PGM_RSRC2:TGID_X_EN: 1
; COMPUTE_PGM_RSRC2:TGID_Y_EN: 0
; COMPUTE_PGM_RSRC2:TGID_Z_EN: 0
; COMPUTE_PGM_RSRC2:TIDIG_COMP_CNT: 0
	.text
	.p2alignl 7, 3214868480
	.fill 96, 4, 3214868480
	.type	__hip_cuid_ba4ed6318b880644,@object ; @__hip_cuid_ba4ed6318b880644
	.section	.bss,"aw",@nobits
	.globl	__hip_cuid_ba4ed6318b880644
__hip_cuid_ba4ed6318b880644:
	.byte	0                               ; 0x0
	.size	__hip_cuid_ba4ed6318b880644, 1

	.ident	"AMD clang version 19.0.0git (https://github.com/RadeonOpenCompute/llvm-project roc-6.4.0 25133 c7fe45cf4b819c5991fe208aaa96edf142730f1d)"
	.section	".note.GNU-stack","",@progbits
	.addrsig
	.addrsig_sym __hip_cuid_ba4ed6318b880644
	.amdgpu_metadata
---
amdhsa.kernels:
  - .args:
      - .actual_access:  read_only
        .address_space:  global
        .offset:         0
        .size:           8
        .value_kind:     global_buffer
      - .offset:         8
        .size:           8
        .value_kind:     by_value
      - .actual_access:  read_only
        .address_space:  global
        .offset:         16
        .size:           8
        .value_kind:     global_buffer
      - .actual_access:  read_only
        .address_space:  global
        .offset:         24
        .size:           8
        .value_kind:     global_buffer
      - .offset:         32
        .size:           8
        .value_kind:     by_value
      - .actual_access:  read_only
        .address_space:  global
        .offset:         40
        .size:           8
        .value_kind:     global_buffer
      - .actual_access:  read_only
        .address_space:  global
        .offset:         48
        .size:           8
        .value_kind:     global_buffer
      - .offset:         56
        .size:           4
        .value_kind:     by_value
      - .actual_access:  read_only
        .address_space:  global
        .offset:         64
        .size:           8
        .value_kind:     global_buffer
      - .actual_access:  read_only
        .address_space:  global
        .offset:         72
        .size:           8
        .value_kind:     global_buffer
      - .address_space:  global
        .offset:         80
        .size:           8
        .value_kind:     global_buffer
    .group_segment_fixed_size: 0
    .kernarg_segment_align: 8
    .kernarg_segment_size: 88
    .language:       OpenCL C
    .language_version:
      - 2
      - 0
    .max_flat_workgroup_size: 216
    .name:           fft_rtc_back_len1080_factors_6_10_6_3_wgs_216_tpt_108_halfLds_half_ip_CI_unitstride_sbrr_R2C_dirReg
    .private_segment_fixed_size: 0
    .sgpr_count:     34
    .sgpr_spill_count: 0
    .symbol:         fft_rtc_back_len1080_factors_6_10_6_3_wgs_216_tpt_108_halfLds_half_ip_CI_unitstride_sbrr_R2C_dirReg.kd
    .uniform_work_group_size: 1
    .uses_dynamic_stack: false
    .vgpr_count:     70
    .vgpr_spill_count: 0
    .wavefront_size: 32
    .workgroup_processor_mode: 1
amdhsa.target:   amdgcn-amd-amdhsa--gfx1201
amdhsa.version:
  - 1
  - 2
...

	.end_amdgpu_metadata
